;; amdgpu-corpus repo=ROCm/rocFFT kind=compiled arch=gfx950 opt=O3
	.text
	.amdgcn_target "amdgcn-amd-amdhsa--gfx950"
	.amdhsa_code_object_version 6
	.protected	fft_rtc_fwd_len17_factors_17_wgs_120_tpt_1_half_op_CI_CI_sbrc_xy_z_aligned ; -- Begin function fft_rtc_fwd_len17_factors_17_wgs_120_tpt_1_half_op_CI_CI_sbrc_xy_z_aligned
	.globl	fft_rtc_fwd_len17_factors_17_wgs_120_tpt_1_half_op_CI_CI_sbrc_xy_z_aligned
	.p2align	8
	.type	fft_rtc_fwd_len17_factors_17_wgs_120_tpt_1_half_op_CI_CI_sbrc_xy_z_aligned,@function
fft_rtc_fwd_len17_factors_17_wgs_120_tpt_1_half_op_CI_CI_sbrc_xy_z_aligned: ; @fft_rtc_fwd_len17_factors_17_wgs_120_tpt_1_half_op_CI_CI_sbrc_xy_z_aligned
; %bb.0:
	s_load_dwordx4 s[12:15], s[0:1], 0x10
	s_load_dwordx2 s[22:23], s[0:1], 0x20
	s_load_dwordx2 s[24:25], s[0:1], 0x58
	s_mov_b32 s3, 0
	s_waitcnt lgkmcnt(0)
	s_load_dwordx4 s[16:19], s[12:13], 0x8
	s_load_dwordx4 s[8:11], s[14:15], 0x0
	s_mov_b32 s13, s3
	s_waitcnt lgkmcnt(0)
	s_add_i32 s4, s18, -1
	s_mul_hi_u32 s4, s4, 0x88888889
	s_lshr_b32 s4, s4, 6
	s_add_i32 s4, s4, 1
	s_mul_i32 s12, s4, s16
	v_cvt_f32_u32_e32 v1, s12
	s_load_dwordx2 s[20:21], s[14:15], 0x10
	s_load_dwordx4 s[4:7], s[22:23], 0x0
	s_load_dwordx2 s[18:19], s[22:23], 0x10
	s_waitcnt lgkmcnt(0)
	s_sub_i32 s7, 0, s12
	v_mov_b64_e32 v[2:3], s[16:17]
	v_rcp_iflag_f32_e32 v1, v1
	s_nop 0
	v_mul_f32_e32 v1, 0x4f7ffffe, v1
	v_cvt_u32_f32_e32 v4, v1
	v_cvt_f32_u32_e32 v1, s16
	v_readfirstlane_b32 s11, v4
	s_mul_i32 s7, s7, s11
	s_mul_hi_u32 s7, s11, s7
	s_add_i32 s11, s11, s7
	s_mul_hi_u32 s7, s2, s11
	s_mul_i32 s11, s7, s12
	s_sub_i32 s11, s2, s11
	s_add_i32 s19, s7, 1
	s_sub_i32 s21, s11, s12
	s_cmp_ge_u32 s11, s12
	s_cselect_b32 s7, s19, s7
	s_cselect_b32 s11, s21, s11
	s_add_i32 s19, s7, 1
	s_cmp_ge_u32 s11, s12
	s_cselect_b32 s7, s19, s7
	s_mul_i32 s11, s7, s12
	s_sub_i32 s12, s2, s11
	v_cmp_lt_u64_e32 vcc, s[12:13], v[2:3]
	v_mov_b64_e32 v[2:3], 0
	s_cbranch_vccnz .LBB0_2
; %bb.1:
	v_rcp_iflag_f32_e32 v2, v1
	s_sub_i32 s11, 0, s16
	v_mul_f32_e32 v2, 0x4f7ffffe, v2
	v_cvt_u32_f32_e32 v2, v2
	v_mul_lo_u32 v3, s11, v2
	v_mul_hi_u32 v3, v2, v3
	v_add_u32_e32 v2, v2, v3
	v_mul_hi_u32 v2, s12, v2
	v_mul_lo_u32 v4, v2, s16
	v_sub_u32_e32 v4, s12, v4
	v_add_u32_e32 v3, 1, v2
	v_subrev_u32_e32 v5, s16, v4
	v_cmp_le_u32_e32 vcc, s16, v4
	s_nop 1
	v_cndmask_b32_e32 v4, v4, v5, vcc
	v_cndmask_b32_e32 v2, v2, v3, vcc
	v_add_u32_e32 v3, 1, v2
	v_cmp_le_u32_e32 vcc, s16, v4
	s_nop 1
	v_cndmask_b32_e32 v2, v2, v3, vcc
.LBB0_2:
	s_load_dwordx2 s[12:13], s[0:1], 0x60
	v_mov_b64_e32 v[4:5], s[16:17]
	v_cmp_lt_u64_e32 vcc, s[2:3], v[4:5]
	v_mov_b64_e32 v[4:5], s[2:3]
	s_cbranch_vccnz .LBB0_4
; %bb.3:
	v_rcp_iflag_f32_e32 v1, v1
	s_sub_i32 s3, 0, s16
	v_mul_f32_e32 v1, 0x4f7ffffe, v1
	v_cvt_u32_f32_e32 v1, v1
	v_mul_lo_u32 v3, s3, v1
	v_mul_hi_u32 v3, v1, v3
	v_add_u32_e32 v1, v1, v3
	v_mul_hi_u32 v1, s2, v1
	v_mul_lo_u32 v1, v1, s16
	v_sub_u32_e32 v1, s2, v1
	v_subrev_u32_e32 v3, s16, v1
	v_cmp_le_u32_e32 vcc, s16, v1
	s_nop 1
	v_cndmask_b32_e32 v1, v1, v3, vcc
	v_subrev_u32_e32 v3, s16, v1
	v_cmp_le_u32_e32 vcc, s16, v1
	s_nop 1
	v_cndmask_b32_e32 v4, v1, v3, vcc
.LBB0_4:
	s_load_dwordx2 s[0:1], s[0:1], 0x8
	v_mul_lo_u32 v1, v4, s10
	s_movk_i32 s2, 0x78
	v_mul_u32_u24_e32 v5, 0xf10, v0
	v_mul_lo_u32 v26, v2, s2
	s_waitcnt lgkmcnt(0)
	s_lshl_b64 s[0:1], s[0:1], 3
	s_add_u32 s10, s14, s0
	s_addc_u32 s11, s15, s1
	s_load_dwordx2 s[10:11], s[10:11], 0x0
	v_lshrrev_b32_e32 v5, 16, v5
	v_mul_lo_u32 v2, v26, s20
	v_mul_lo_u16_e32 v6, 17, v5
	v_add_u32_e32 v2, v1, v2
	s_waitcnt lgkmcnt(0)
	s_mul_i32 s3, s11, s7
	s_mul_hi_u32 s11, s10, s7
	s_add_i32 s11, s11, s3
	s_add_u32 s0, s22, s0
	s_addc_u32 s1, s23, s1
	s_load_dwordx2 s[0:1], s[0:1], 0x0
	v_sub_u16_e32 v1, v0, v6
	v_mad_u64_u32 v[8:9], s[14:15], s8, v1, 0
	s_mul_i32 s10, s10, s7
	s_waitcnt lgkmcnt(0)
	s_mul_i32 s1, s1, s7
	s_mul_hi_u32 s3, s0, s7
	v_mov_b32_e32 v6, v9
	v_mov_b32_e32 v3, 0
	s_add_i32 s1, s3, s1
	v_mad_u64_u32 v[6:7], s[14:15], s9, v1, v[6:7]
	s_lshl_b64 s[10:11], s[10:11], 2
	v_add_u32_e32 v1, 0x78, v0
	v_mov_b32_e32 v9, v6
	s_add_u32 s10, s24, s10
	v_lshlrev_b64 v[6:7], 2, v[2:3]
	v_mul_u32_u24_e32 v2, 0xf10, v1
	v_mul_lo_u32 v10, s20, v5
	s_addc_u32 s11, s25, s11
	v_lshrrev_b32_e32 v5, 16, v2
	v_lshl_add_u64 v[6:7], s[10:11], 0, v[6:7]
	v_mul_lo_u16_e32 v2, 17, v5
	v_mov_b32_e32 v11, v3
	v_lshl_add_u64 v[8:9], v[8:9], 2, v[6:7]
	v_sub_u16_e32 v1, v1, v2
	v_lshl_add_u64 v[8:9], v[10:11], 2, v[8:9]
	v_mad_u64_u32 v[10:11], s[10:11], s8, v1, 0
	v_mov_b32_e32 v2, v11
	v_mad_u64_u32 v[12:13], s[10:11], s9, v1, v[2:3]
	v_mov_b32_e32 v11, v12
	v_mul_lo_u32 v2, s20, v5
	v_lshl_add_u64 v[10:11], v[10:11], 2, v[6:7]
	v_add_u32_e32 v1, 0xf0, v0
	v_lshl_add_u64 v[10:11], v[2:3], 2, v[10:11]
	v_mul_u32_u24_e32 v2, 0xf10, v1
	v_lshrrev_b32_e32 v5, 16, v2
	v_mul_lo_u16_e32 v2, 17, v5
	v_sub_u16_e32 v1, v1, v2
	v_mad_u64_u32 v[12:13], s[10:11], s8, v1, 0
	v_mov_b32_e32 v2, v13
	v_mad_u64_u32 v[14:15], s[10:11], s9, v1, v[2:3]
	v_mov_b32_e32 v13, v14
	v_mul_lo_u32 v2, s20, v5
	v_lshl_add_u64 v[12:13], v[12:13], 2, v[6:7]
	v_add_u32_e32 v1, 0x168, v0
	v_lshl_add_u64 v[12:13], v[2:3], 2, v[12:13]
	v_mul_u32_u24_e32 v2, 0xf10, v1
	v_lshrrev_b32_e32 v5, 16, v2
	v_mul_lo_u16_e32 v2, 17, v5
	v_sub_u16_e32 v1, v1, v2
	;; [unrolled: 12-line block ×6, first 2 shown]
	v_mad_u64_u32 v[22:23], s[10:11], s8, v1, 0
	v_mov_b32_e32 v2, v23
	v_mad_u64_u32 v[24:25], s[10:11], s9, v1, v[2:3]
	v_mov_b32_e32 v23, v24
	v_mul_lo_u32 v2, s20, v5
	v_lshl_add_u64 v[22:23], v[22:23], 2, v[6:7]
	v_lshl_add_u64 v[22:23], v[2:3], 2, v[22:23]
	v_add_u32_e32 v2, 0x3c0, v0
	v_mul_u32_u24_e32 v5, 0xf10, v2
	v_lshrrev_b32_e32 v5, 16, v5
	global_load_dword v1, v[8:9], off
	global_load_dword v27, v[10:11], off
	;; [unrolled: 1-line block ×8, first 2 shown]
	v_mul_lo_u16_e32 v8, 17, v5
	v_sub_u16_e32 v10, v2, v8
	v_mad_u64_u32 v[8:9], s[10:11], s8, v10, 0
	v_mov_b32_e32 v2, v9
	v_mad_u64_u32 v[10:11], s[10:11], s9, v10, v[2:3]
	v_mov_b32_e32 v9, v10
	v_mul_lo_u32 v2, s20, v5
	v_lshl_add_u64 v[8:9], v[8:9], 2, v[6:7]
	v_lshl_add_u64 v[8:9], v[2:3], 2, v[8:9]
	v_add_u32_e32 v2, 0x438, v0
	v_mul_u32_u24_e32 v5, 0xf10, v2
	v_lshrrev_b32_e32 v5, 16, v5
	v_mul_lo_u16_e32 v10, 17, v5
	v_sub_u16_e32 v12, v2, v10
	v_mad_u64_u32 v[10:11], s[10:11], s8, v12, 0
	v_mov_b32_e32 v2, v11
	v_mad_u64_u32 v[12:13], s[10:11], s9, v12, v[2:3]
	v_mov_b32_e32 v11, v12
	v_mul_lo_u32 v2, s20, v5
	v_lshl_add_u64 v[10:11], v[10:11], 2, v[6:7]
	v_lshl_add_u64 v[10:11], v[2:3], 2, v[10:11]
	v_add_u32_e32 v2, 0x4b0, v0
	v_mul_u32_u24_e32 v5, 0xf10, v2
	v_lshrrev_b32_e32 v5, 16, v5
	;; [unrolled: 12-line block ×7, first 2 shown]
	v_mul_lo_u16_e32 v22, 17, v5
	v_sub_u16_e32 v24, v2, v22
	v_mad_u64_u32 v[22:23], s[10:11], s8, v24, 0
	v_mov_b32_e32 v2, v23
	v_mad_u64_u32 v[24:25], s[10:11], s9, v24, v[2:3]
	v_mov_b32_e32 v23, v24
	v_mul_lo_u32 v2, s20, v5
	v_lshl_add_u64 v[22:23], v[22:23], 2, v[6:7]
	v_lshl_add_u64 v[22:23], v[2:3], 2, v[22:23]
	v_or_b32_e32 v2, 0x780, v0
	v_mul_u32_u24_e32 v5, 0xf10, v2
	v_lshrrev_b32_e32 v5, 16, v5
	global_load_dword v24, v[8:9], off
	global_load_dword v25, v[10:11], off
	global_load_dword v34, v[12:13], off
	global_load_dword v35, v[14:15], off
	global_load_dword v36, v[16:17], off
	global_load_dword v37, v[18:19], off
	global_load_dword v38, v[20:21], off
	global_load_dword v39, v[22:23], off
	v_mul_lo_u16_e32 v8, 17, v5
	v_sub_u16_e32 v10, v2, v8
	v_mad_u64_u32 v[8:9], s[10:11], s8, v10, 0
	v_mov_b32_e32 v2, v9
	v_mad_u64_u32 v[10:11], s[8:9], s9, v10, v[2:3]
	v_mov_b32_e32 v9, v10
	v_mul_lo_u32 v2, s20, v5
	v_lshl_add_u64 v[6:7], v[8:9], 2, v[6:7]
	v_lshl_add_u64 v[6:7], v[2:3], 2, v[6:7]
	global_load_dword v2, v[6:7], off
	v_add_u32_e32 v8, v26, v0
	s_mov_b32 s3, 0x88888889
	v_mul_hi_u32 v9, v8, s3
	v_lshrrev_b32_e32 v9, 6, v9
	v_mul_lo_u32 v9, v9, s2
	v_sub_u32_e32 v8, v8, v9
	v_lshl_add_u32 v9, v0, 2, 0
	s_waitcnt vmcnt(15)
	ds_write2_b32 v9, v1, v27 offset1:120
	v_add_u32_e32 v1, 0x200, v9
	s_waitcnt vmcnt(13)
	ds_write2_b32 v1, v28, v29 offset0:112 offset1:232
	v_add_u32_e32 v1, 0x600, v9
	s_waitcnt vmcnt(11)
	ds_write2_b32 v1, v30, v31 offset0:96 offset1:216
	;; [unrolled: 3-line block ×3, first 2 shown]
	v_add_u32_e32 v1, 0xe00, v9
	s_movk_i32 s2, 0x44
	v_mul_lo_u32 v6, s5, v26
	v_mul_hi_u32 v7, s4, v26
	v_add_u32_e32 v7, v7, v6
	v_mul_lo_u32 v6, s4, v26
	s_mul_i32 s0, s0, s7
	s_movk_i32 s9, 0x3b76
	s_movk_i32 s7, 0x39e9
	;; [unrolled: 1-line block ×3, first 2 shown]
	s_mov_b32 s8, 0xb461
	s_mov_b32 s10, 0xb8d2
	;; [unrolled: 1-line block ×4, first 2 shown]
	v_mul_lo_u32 v4, v4, s18
	v_mov_b32_e32 v5, v3
	v_lshlrev_b64 v[6:7], 2, v[6:7]
	v_lshl_add_u64 v[6:7], s[12:13], 0, v[6:7]
	v_lshlrev_b64 v[4:5], 2, v[4:5]
	v_lshl_add_u64 v[4:5], v[6:7], 0, v[4:5]
	s_lshl_b64 s[0:1], s[0:1], 2
	v_lshl_add_u64 v[4:5], v[4:5], 0, s[0:1]
	s_waitcnt vmcnt(7)
	ds_write2_b32 v1, v24, v25 offset0:64 offset1:184
	v_add_u32_e32 v1, 0x1200, v9
	s_waitcnt vmcnt(5)
	ds_write2_b32 v1, v34, v35 offset0:48 offset1:168
	v_add_u32_e32 v1, 0x1600, v9
	;; [unrolled: 3-line block ×3, first 2 shown]
	s_waitcnt vmcnt(1)
	ds_write2_b32 v1, v38, v39 offset0:16 offset1:136
	s_waitcnt vmcnt(0)
	ds_write_b32 v9, v2 offset:7680
	v_mad_u32_u24 v1, v8, s2, 0
	s_waitcnt lgkmcnt(0)
	s_barrier
	ds_read_b32 v24, v1
	ds_read2_b32 v[20:21], v1 offset0:1 offset1:2
	ds_read2_b32 v[16:17], v1 offset0:3 offset1:4
	;; [unrolled: 1-line block ×8, first 2 shown]
	s_waitcnt lgkmcnt(7)
	v_add_f16_e32 v2, v20, v24
	v_add_f16_sdwa v25, v20, v24 dst_sel:DWORD dst_unused:UNUSED_PAD src0_sel:WORD_1 src1_sel:WORD_1
	v_add_f16_e32 v2, v2, v21
	v_add_f16_sdwa v25, v25, v21 dst_sel:DWORD dst_unused:UNUSED_PAD src0_sel:DWORD src1_sel:WORD_1
	s_waitcnt lgkmcnt(6)
	v_add_f16_e32 v2, v2, v16
	v_add_f16_sdwa v25, v25, v16 dst_sel:DWORD dst_unused:UNUSED_PAD src0_sel:DWORD src1_sel:WORD_1
	v_add_f16_e32 v2, v2, v17
	v_add_f16_sdwa v25, v25, v17 dst_sel:DWORD dst_unused:UNUSED_PAD src0_sel:DWORD src1_sel:WORD_1
	s_waitcnt lgkmcnt(5)
	v_add_f16_e32 v2, v2, v12
	v_add_f16_sdwa v25, v25, v12 dst_sel:DWORD dst_unused:UNUSED_PAD src0_sel:DWORD src1_sel:WORD_1
	;; [unrolled: 5-line block ×7, first 2 shown]
	v_add_f16_e32 v2, v2, v23
	v_add_f16_sdwa v25, v25, v23 dst_sel:WORD_1 dst_unused:UNUSED_PAD src0_sel:DWORD src1_sel:WORD_1
	v_add_f16_sdwa v26, v23, v20 dst_sel:DWORD dst_unused:UNUSED_PAD src0_sel:WORD_1 src1_sel:WORD_1
	v_or_b32_e32 v2, v25, v2
	v_add_f16_e32 v25, v23, v20
	v_sub_f16_e32 v27, v20, v23
	v_sub_f16_sdwa v20, v20, v23 dst_sel:DWORD dst_unused:UNUSED_PAD src0_sel:WORD_1 src1_sel:WORD_1
	v_mul_f16_e32 v23, 0xb5c8, v20
	v_mul_f16_e32 v29, 0xb5c8, v27
	;; [unrolled: 1-line block ×7, first 2 shown]
	s_movk_i32 s2, 0x2de8
	v_mul_f16_e32 v41, 0xbbf7, v27
	v_mul_f16_e32 v43, 0xbbb2, v20
	;; [unrolled: 1-line block ×9, first 2 shown]
	v_fma_f16 v28, v25, s9, -v23
	v_fma_f16 v30, v26, s9, v29
	v_fma_f16 v23, v25, s9, v23
	v_fma_f16 v29, v26, s9, -v29
	v_fma_f16 v32, v25, s7, -v31
	v_fma_f16 v34, v26, s7, v33
	v_fma_f16 v31, v25, s7, v31
	v_fma_f16 v33, v26, s7, -v33
	;; [unrolled: 4-line block ×8, first 2 shown]
	v_add_f16_e32 v28, v28, v24
	v_add_f16_sdwa v30, v30, v24 dst_sel:DWORD dst_unused:UNUSED_PAD src0_sel:DWORD src1_sel:WORD_1
	v_add_f16_e32 v23, v23, v24
	v_add_f16_sdwa v29, v29, v24 dst_sel:DWORD dst_unused:UNUSED_PAD src0_sel:DWORD src1_sel:WORD_1
	;; [unrolled: 2-line block ×16, first 2 shown]
	v_add_f16_e32 v25, v22, v21
	v_add_f16_sdwa v26, v22, v21 dst_sel:DWORD dst_unused:UNUSED_PAD src0_sel:WORD_1 src1_sel:WORD_1
	v_sub_f16_e32 v27, v21, v22
	v_sub_f16_sdwa v21, v21, v22 dst_sel:DWORD dst_unused:UNUSED_PAD src0_sel:WORD_1 src1_sel:WORD_1
	v_mul_f16_e32 v22, 0xb964, v21
	v_fma_f16 v57, v25, s7, -v22
	v_add_f16_e32 v28, v57, v28
	v_mul_f16_e32 v57, 0xb964, v27
	v_fma_f16 v22, v25, s7, v22
	v_add_f16_e32 v22, v22, v23
	v_fma_f16 v23, v26, s7, -v57
	v_add_f16_e32 v23, v23, v29
	v_mul_f16_e32 v29, 0xbbf7, v21
	v_fma_f16 v58, v26, s7, v57
	v_fma_f16 v57, v25, s2, -v29
	v_add_f16_e32 v32, v57, v32
	v_mul_f16_e32 v57, 0xbbf7, v27
	v_fma_f16 v29, v25, s2, v29
	v_add_f16_e32 v29, v29, v31
	v_fma_f16 v31, v26, s2, -v57
	v_add_f16_e32 v31, v31, v33
	v_mul_f16_e32 v33, 0xba62, v21
	v_add_f16_e32 v30, v58, v30
	v_fma_f16 v58, v26, s2, v57
	v_fma_f16 v57, v25, s10, -v33
	v_add_f16_e32 v36, v57, v36
	v_mul_f16_e32 v57, 0xba62, v27
	v_fma_f16 v33, v25, s10, v33
	v_add_f16_e32 v33, v33, v35
	v_fma_f16 v35, v26, s10, -v57
	v_add_f16_e32 v35, v35, v37
	v_mul_f16_e32 v37, 0xb1e1, v21
	v_add_f16_e32 v34, v58, v34
	;; [unrolled: 10-line block ×5, first 2 shown]
	v_fma_f16 v58, v26, s8, v57
	v_fma_f16 v57, v25, s3, -v49
	v_add_f16_e32 v52, v57, v52
	v_mul_f16_e32 v57, 0x3b29, v27
	v_fma_f16 v49, v25, s3, v49
	v_add_f16_e32 v49, v49, v51
	v_fma_f16 v51, v26, s3, -v57
	v_mul_f16_e32 v21, 0x35c8, v21
	v_add_f16_e32 v51, v51, v53
	v_fma_f16 v53, v25, s9, -v21
	v_mul_f16_e32 v27, 0x35c8, v27
	v_fma_f16 v21, v25, s9, v21
	v_add_f16_e32 v20, v21, v20
	v_fma_f16 v21, v26, s9, -v27
	v_add_f16_e32 v50, v58, v50
	v_fma_f16 v58, v26, s3, v57
	v_add_f16_e32 v53, v53, v55
	v_fma_f16 v55, v26, s9, v27
	v_add_f16_e32 v21, v21, v24
	v_add_f16_e32 v24, v19, v16
	v_add_f16_sdwa v25, v19, v16 dst_sel:DWORD dst_unused:UNUSED_PAD src0_sel:WORD_1 src1_sel:WORD_1
	v_sub_f16_e32 v26, v16, v19
	v_sub_f16_sdwa v16, v16, v19 dst_sel:DWORD dst_unused:UNUSED_PAD src0_sel:WORD_1 src1_sel:WORD_1
	v_mul_f16_e32 v19, 0xbb29, v16
	v_fma_f16 v27, v24, s3, -v19
	v_add_f16_e32 v27, v27, v28
	v_mul_f16_e32 v28, 0xbb29, v26
	v_fma_f16 v19, v24, s3, v19
	v_add_f16_e32 v19, v19, v22
	v_fma_f16 v22, v25, s3, -v28
	v_add_f16_e32 v22, v22, v23
	v_mul_f16_e32 v23, 0xba62, v16
	v_add_f16_e32 v55, v55, v56
	v_fma_f16 v56, v25, s3, v28
	v_fma_f16 v28, v24, s10, -v23
	v_add_f16_e32 v28, v28, v32
	v_mul_f16_e32 v32, 0xba62, v26
	v_fma_f16 v23, v24, s10, v23
	v_add_f16_e32 v23, v23, v29
	v_fma_f16 v29, v25, s10, -v32
	v_add_f16_e32 v29, v29, v31
	v_mul_f16_e32 v31, 0x31e1, v16
	v_add_f16_e32 v30, v56, v30
	v_fma_f16 v56, v25, s10, v32
	;; [unrolled: 10-line block ×6, first 2 shown]
	v_fma_f16 v48, v24, s2, -v47
	v_add_f16_e32 v48, v48, v52
	v_mul_f16_e32 v52, 0xbbf7, v26
	v_fma_f16 v47, v24, s2, v47
	v_add_f16_e32 v47, v47, v49
	v_fma_f16 v49, v25, s2, -v52
	v_mul_f16_e32 v16, 0xb836, v16
	v_add_f16_e32 v49, v49, v51
	v_fma_f16 v51, v24, s11, -v16
	v_mul_f16_e32 v26, 0xb836, v26
	v_fma_f16 v16, v24, s11, v16
	v_add_f16_e32 v16, v16, v20
	v_fma_f16 v20, v25, s11, -v26
	v_add_f16_e32 v50, v56, v50
	v_fma_f16 v56, v25, s2, v52
	v_fma_f16 v52, v25, s11, v26
	v_add_f16_e32 v20, v20, v21
	v_add_f16_e32 v21, v18, v17
	v_add_f16_sdwa v24, v18, v17 dst_sel:DWORD dst_unused:UNUSED_PAD src0_sel:WORD_1 src1_sel:WORD_1
	v_sub_f16_e32 v25, v17, v18
	v_sub_f16_sdwa v17, v17, v18 dst_sel:DWORD dst_unused:UNUSED_PAD src0_sel:WORD_1 src1_sel:WORD_1
	v_mul_f16_e32 v18, 0xbbf7, v17
	v_fma_f16 v26, v21, s2, -v18
	v_add_f16_e32 v26, v26, v27
	v_mul_f16_e32 v27, 0xbbf7, v25
	v_fma_f16 v18, v21, s2, v18
	v_add_f16_e32 v18, v18, v19
	v_fma_f16 v19, v24, s2, -v27
	v_add_f16_e32 v19, v19, v22
	v_mul_f16_e32 v22, 0xb1e1, v17
	v_add_f16_e32 v51, v51, v53
	v_fma_f16 v53, v24, s2, v27
	v_fma_f16 v27, v21, s14, -v22
	v_add_f16_e32 v27, v27, v28
	v_mul_f16_e32 v28, 0xb1e1, v25
	v_fma_f16 v22, v21, s14, v22
	v_add_f16_e32 v30, v53, v30
	v_fma_f16 v53, v24, s14, v28
	v_add_f16_e32 v22, v22, v23
	v_fma_f16 v23, v24, s14, -v28
	v_mul_f16_e32 v28, 0x3bb2, v17
	v_add_f16_e32 v23, v23, v29
	v_fma_f16 v29, v21, s8, -v28
	v_add_f16_e32 v29, v29, v32
	v_mul_f16_e32 v32, 0x3bb2, v25
	v_fma_f16 v28, v21, s8, v28
	v_add_f16_e32 v34, v53, v34
	v_fma_f16 v53, v24, s8, v32
	v_add_f16_e32 v28, v28, v31
	v_fma_f16 v31, v24, s8, -v32
	v_mul_f16_e32 v32, 0x35c8, v17
	v_add_f16_e32 v31, v31, v33
	;; [unrolled: 10-line block ×5, first 2 shown]
	v_fma_f16 v45, v21, s10, -v44
	v_add_f16_e32 v45, v45, v48
	v_mul_f16_e32 v48, 0x3a62, v25
	v_fma_f16 v44, v21, s10, v44
	v_mul_f16_e32 v17, 0x3964, v17
	v_add_f16_e32 v50, v53, v50
	v_fma_f16 v53, v24, s10, v48
	v_add_f16_e32 v44, v44, v47
	v_fma_f16 v47, v24, s10, -v48
	v_fma_f16 v48, v21, s7, -v17
	v_mul_f16_e32 v25, 0x3964, v25
	v_fma_f16 v17, v21, s7, v17
	v_add_f16_e32 v16, v17, v16
	v_fma_f16 v17, v24, s7, -v25
	v_add_f16_e32 v47, v47, v49
	v_fma_f16 v49, v24, s7, v25
	v_add_f16_e32 v17, v17, v20
	v_add_f16_e32 v20, v15, v12
	v_add_f16_sdwa v21, v15, v12 dst_sel:DWORD dst_unused:UNUSED_PAD src0_sel:WORD_1 src1_sel:WORD_1
	v_sub_f16_e32 v24, v12, v15
	v_sub_f16_sdwa v12, v12, v15 dst_sel:DWORD dst_unused:UNUSED_PAD src0_sel:WORD_1 src1_sel:WORD_1
	v_mul_f16_e32 v15, 0xbbb2, v12
	v_fma_f16 v25, v20, s8, -v15
	v_add_f16_e32 v25, v25, v26
	v_mul_f16_e32 v26, 0xbbb2, v24
	v_fma_f16 v15, v20, s8, v15
	v_add_f16_e32 v15, v15, v18
	v_fma_f16 v18, v21, s8, -v26
	v_add_f16_e32 v18, v18, v19
	v_mul_f16_e32 v19, 0x3836, v12
	v_add_f16_e32 v48, v48, v51
	v_fma_f16 v51, v21, s8, v26
	v_fma_f16 v26, v20, s11, -v19
	v_add_f16_e32 v26, v26, v27
	v_mul_f16_e32 v27, 0x3836, v24
	v_fma_f16 v19, v20, s11, v19
	v_add_f16_e32 v19, v19, v22
	v_fma_f16 v22, v21, s11, -v27
	v_add_f16_e32 v22, v22, v23
	v_mul_f16_e32 v23, 0x3964, v12
	v_add_f16_e32 v30, v51, v30
	v_fma_f16 v51, v21, s11, v27
	v_fma_f16 v27, v20, s7, -v23
	v_add_f16_e32 v27, v27, v29
	v_mul_f16_e32 v29, 0x3964, v24
	v_fma_f16 v23, v20, s7, v23
	v_add_f16_e32 v34, v51, v34
	v_fma_f16 v51, v21, s7, v29
	v_add_f16_e32 v23, v23, v28
	v_fma_f16 v28, v21, s7, -v29
	v_mul_f16_e32 v29, 0xbb29, v12
	v_add_f16_e32 v28, v28, v31
	v_fma_f16 v31, v20, s3, -v29
	v_add_f16_e32 v31, v31, v33
	v_mul_f16_e32 v33, 0xbb29, v24
	v_fma_f16 v29, v20, s3, v29
	v_add_f16_e32 v38, v51, v38
	v_fma_f16 v51, v21, s3, v33
	v_add_f16_e32 v29, v29, v32
	v_fma_f16 v32, v21, s3, -v33
	v_mul_f16_e32 v33, 0xb1e1, v12
	v_add_f16_e32 v32, v32, v35
	;; [unrolled: 10-line block ×4, first 2 shown]
	v_fma_f16 v43, v20, s9, -v41
	v_add_f16_e32 v43, v43, v45
	v_mul_f16_e32 v45, 0xb5c8, v24
	v_fma_f16 v41, v20, s9, v41
	v_mul_f16_e32 v12, 0xba62, v12
	v_add_f16_e32 v50, v51, v50
	v_fma_f16 v51, v21, s9, v45
	v_add_f16_e32 v41, v41, v44
	v_fma_f16 v44, v21, s9, -v45
	v_fma_f16 v45, v20, s10, -v12
	v_mul_f16_e32 v24, 0xba62, v24
	v_fma_f16 v12, v20, s10, v12
	v_add_f16_e32 v12, v12, v16
	v_fma_f16 v16, v21, s10, -v24
	v_add_f16_e32 v44, v44, v47
	v_fma_f16 v47, v21, s10, v24
	v_add_f16_e32 v16, v16, v17
	v_add_f16_e32 v17, v14, v13
	v_add_f16_sdwa v20, v14, v13 dst_sel:DWORD dst_unused:UNUSED_PAD src0_sel:WORD_1 src1_sel:WORD_1
	v_sub_f16_e32 v21, v13, v14
	v_sub_f16_sdwa v13, v13, v14 dst_sel:DWORD dst_unused:UNUSED_PAD src0_sel:WORD_1 src1_sel:WORD_1
	v_mul_f16_e32 v14, 0xba62, v13
	v_fma_f16 v24, v17, s10, -v14
	v_add_f16_e32 v24, v24, v25
	v_mul_f16_e32 v25, 0xba62, v21
	v_fma_f16 v14, v17, s10, v14
	v_add_f16_e32 v14, v14, v15
	v_fma_f16 v15, v20, s10, -v25
	v_add_f16_e32 v15, v15, v18
	v_mul_f16_e32 v18, 0x3bb2, v13
	v_add_f16_e32 v45, v45, v48
	v_fma_f16 v48, v20, s10, v25
	v_fma_f16 v25, v17, s8, -v18
	v_add_f16_e32 v25, v25, v26
	v_mul_f16_e32 v26, 0x3bb2, v21
	v_fma_f16 v18, v17, s8, v18
	v_add_f16_e32 v18, v18, v19
	v_fma_f16 v19, v20, s8, -v26
	v_add_f16_e32 v19, v19, v22
	v_mul_f16_e32 v22, 0xb5c8, v13
	v_add_f16_e32 v30, v48, v30
	v_fma_f16 v48, v20, s8, v26
	v_fma_f16 v26, v17, s9, -v22
	v_add_f16_e32 v26, v26, v27
	v_mul_f16_e32 v27, 0xb5c8, v21
	v_fma_f16 v22, v17, s9, v22
	v_add_f16_e32 v34, v48, v34
	v_fma_f16 v48, v20, s9, v27
	v_add_f16_e32 v22, v22, v23
	v_fma_f16 v23, v20, s9, -v27
	v_mul_f16_e32 v27, 0xb836, v13
	v_add_f16_e32 v23, v23, v28
	v_fma_f16 v28, v17, s11, -v27
	v_add_f16_e32 v28, v28, v31
	v_mul_f16_e32 v31, 0xb836, v21
	v_fma_f16 v27, v17, s11, v27
	v_add_f16_e32 v38, v48, v38
	v_fma_f16 v48, v20, s11, v31
	v_add_f16_e32 v27, v27, v29
	v_fma_f16 v29, v20, s11, -v31
	v_mul_f16_e32 v31, 0x3bf7, v13
	v_add_f16_e32 v29, v29, v32
	;; [unrolled: 10-line block ×4, first 2 shown]
	v_add_f16_e32 v37, v37, v40
	v_fma_f16 v40, v17, s14, -v39
	v_add_f16_e32 v49, v49, v52
	v_add_f16_e32 v40, v40, v43
	v_mul_f16_e32 v43, 0xb1e1, v21
	v_fma_f16 v39, v17, s14, v39
	v_mul_f16_e32 v13, 0x3b29, v13
	v_add_f16_e32 v47, v47, v49
	v_fma_f16 v49, v20, s14, v43
	v_add_f16_e32 v39, v39, v41
	v_fma_f16 v41, v20, s14, -v43
	v_fma_f16 v43, v17, s3, -v13
	v_mul_f16_e32 v21, 0x3b29, v21
	v_fma_f16 v13, v17, s3, v13
	v_add_f16_e32 v12, v13, v12
	v_fma_f16 v13, v20, s3, -v21
	v_add_f16_e32 v41, v41, v44
	v_fma_f16 v44, v20, s3, v21
	v_add_f16_e32 v13, v13, v16
	v_add_f16_e32 v16, v11, v8
	v_add_f16_sdwa v17, v11, v8 dst_sel:DWORD dst_unused:UNUSED_PAD src0_sel:WORD_1 src1_sel:WORD_1
	v_sub_f16_e32 v20, v8, v11
	v_sub_f16_sdwa v8, v8, v11 dst_sel:DWORD dst_unused:UNUSED_PAD src0_sel:WORD_1 src1_sel:WORD_1
	v_mul_f16_e32 v11, 0xb836, v8
	v_fma_f16 v21, v16, s11, -v11
	v_add_f16_e32 v21, v21, v24
	v_mul_f16_e32 v24, 0xb836, v20
	v_fma_f16 v11, v16, s11, v11
	v_add_f16_e32 v11, v11, v14
	v_fma_f16 v14, v17, s11, -v24
	v_add_f16_e32 v14, v14, v15
	v_mul_f16_e32 v15, 0x3b29, v8
	v_add_f16_e32 v43, v43, v45
	v_fma_f16 v45, v17, s11, v24
	v_fma_f16 v24, v16, s3, -v15
	v_add_f16_e32 v24, v24, v25
	v_mul_f16_e32 v25, 0x3b29, v20
	v_fma_f16 v15, v16, s3, v15
	v_add_f16_e32 v15, v15, v18
	v_fma_f16 v18, v17, s3, -v25
	v_add_f16_e32 v18, v18, v19
	v_mul_f16_e32 v19, 0xbbf7, v8
	v_add_f16_e32 v30, v45, v30
	v_fma_f16 v45, v17, s3, v25
	v_fma_f16 v25, v16, s2, -v19
	v_add_f16_e32 v25, v25, v26
	v_mul_f16_e32 v26, 0xbbf7, v20
	v_fma_f16 v19, v16, s2, v19
	v_add_f16_e32 v19, v19, v22
	v_fma_f16 v22, v17, s2, -v26
	v_add_f16_e32 v22, v22, v23
	v_mul_f16_e32 v23, 0x3a62, v8
	v_add_f16_e32 v34, v45, v34
	v_fma_f16 v45, v17, s2, v26
	v_fma_f16 v26, v16, s10, -v23
	v_add_f16_e32 v26, v26, v28
	v_mul_f16_e32 v28, 0x3a62, v20
	v_fma_f16 v23, v16, s10, v23
	v_add_f16_e32 v38, v45, v38
	v_fma_f16 v45, v17, s10, v28
	v_add_f16_e32 v23, v23, v27
	v_fma_f16 v27, v17, s10, -v28
	v_mul_f16_e32 v28, 0xb5c8, v8
	v_add_f16_e32 v27, v27, v29
	v_fma_f16 v29, v16, s9, -v28
	v_add_f16_e32 v29, v29, v32
	v_mul_f16_e32 v32, 0xb5c8, v20
	v_fma_f16 v28, v16, s9, v28
	v_add_f16_e32 v42, v45, v42
	v_fma_f16 v45, v17, s9, v32
	v_add_f16_e32 v28, v28, v31
	v_fma_f16 v31, v17, s9, -v32
	v_mul_f16_e32 v32, 0xb1e1, v8
	v_add_f16_e32 v31, v31, v33
	v_fma_f16 v33, v16, s14, -v32
	v_add_f16_e32 v33, v33, v36
	v_mul_f16_e32 v36, 0xb1e1, v20
	v_fma_f16 v32, v16, s14, v32
	v_add_f16_e32 v45, v45, v46
	v_fma_f16 v46, v17, s14, v36
	v_add_f16_e32 v32, v32, v35
	v_fma_f16 v35, v17, s14, -v36
	v_mul_f16_e32 v36, 0x3964, v8
	v_add_f16_e32 v35, v35, v37
	v_fma_f16 v37, v16, s7, -v36
	v_add_f16_e32 v37, v37, v40
	v_mul_f16_e32 v40, 0x3964, v20
	v_fma_f16 v36, v16, s7, v36
	v_mul_f16_e32 v8, 0xbbb2, v8
	v_add_f16_e32 v44, v44, v47
	v_fma_f16 v47, v17, s7, v40
	v_add_f16_e32 v36, v36, v39
	v_fma_f16 v39, v17, s7, -v40
	v_fma_f16 v40, v16, s8, -v8
	v_mul_f16_e32 v20, 0xbbb2, v20
	v_fma_f16 v8, v16, s8, v8
	v_add_f16_e32 v8, v8, v12
	v_fma_f16 v12, v17, s8, -v20
	v_add_f16_e32 v39, v39, v41
	v_fma_f16 v41, v17, s8, v20
	v_add_f16_e32 v12, v12, v13
	v_add_f16_e32 v13, v10, v9
	v_add_f16_sdwa v16, v10, v9 dst_sel:DWORD dst_unused:UNUSED_PAD src0_sel:WORD_1 src1_sel:WORD_1
	v_sub_f16_e32 v17, v9, v10
	v_sub_f16_sdwa v9, v9, v10 dst_sel:DWORD dst_unused:UNUSED_PAD src0_sel:WORD_1 src1_sel:WORD_1
	v_mul_f16_e32 v10, 0xb1e1, v9
	v_fma_f16 v20, v13, s14, -v10
	v_add_f16_e32 v20, v20, v21
	v_mul_f16_e32 v21, 0xb1e1, v17
	v_fma_f16 v10, v13, s14, v10
	v_add_f16_e32 v10, v10, v11
	v_fma_f16 v11, v16, s14, -v21
	v_add_f16_e32 v11, v11, v14
	v_mul_f16_e32 v14, 0x35c8, v9
	v_add_f16_e32 v40, v40, v43
	v_fma_f16 v43, v16, s14, v21
	v_fma_f16 v21, v13, s9, -v14
	v_add_f16_e32 v21, v21, v24
	v_mul_f16_e32 v24, 0x35c8, v17
	v_fma_f16 v14, v13, s9, v14
	v_add_f16_e32 v14, v14, v15
	v_fma_f16 v15, v16, s9, -v24
	v_add_f16_e32 v15, v15, v18
	v_mul_f16_e32 v18, 0xb836, v9
	v_add_f16_e32 v30, v43, v30
	v_fma_f16 v43, v16, s9, v24
	;; [unrolled: 10-line block ×3, first 2 shown]
	v_fma_f16 v25, v13, s7, -v22
	v_add_f16_e32 v25, v25, v26
	v_mul_f16_e32 v26, 0x3964, v17
	v_fma_f16 v22, v13, s7, v22
	v_add_f16_e32 v38, v43, v38
	v_fma_f16 v43, v16, s7, v26
	v_add_f16_e32 v22, v22, v23
	v_fma_f16 v23, v16, s7, -v26
	v_mul_f16_e32 v26, 0xba62, v9
	v_add_f16_e32 v23, v23, v27
	v_fma_f16 v27, v13, s10, -v26
	v_add_f16_e32 v27, v27, v29
	v_mul_f16_e32 v29, 0xba62, v17
	v_fma_f16 v26, v13, s10, v26
	v_add_f16_e32 v42, v43, v42
	v_fma_f16 v43, v16, s10, v29
	v_add_f16_e32 v26, v26, v28
	v_fma_f16 v28, v16, s10, -v29
	v_mul_f16_e32 v29, 0x3b29, v9
	v_add_f16_e32 v28, v28, v31
	;; [unrolled: 10-line block ×3, first 2 shown]
	v_add_f16_e32 v32, v32, v35
	v_fma_f16 v35, v13, s8, -v33
	v_add_f16_e32 v54, v56, v54
	v_add_f16_e32 v35, v35, v37
	v_mul_f16_e32 v37, 0xbbb2, v17
	v_fma_f16 v33, v13, s8, v33
	v_mul_f16_e32 v9, 0x3bf7, v9
	v_add_f16_e32 v53, v53, v54
	v_add_f16_e32 v43, v43, v45
	v_fma_f16 v45, v16, s8, v37
	v_add_f16_e32 v33, v33, v36
	v_fma_f16 v36, v16, s8, -v37
	v_fma_f16 v37, v13, s2, -v9
	v_mul_f16_e32 v17, 0x3bf7, v17
	v_fma_f16 v9, v13, s2, v9
	v_add_f16_e32 v51, v51, v53
	v_add_f16_e32 v48, v48, v50
	;; [unrolled: 1-line block ×3, first 2 shown]
	v_fma_f16 v9, v16, s2, -v17
	v_add_f16_e32 v49, v49, v51
	v_add_f16_e32 v46, v46, v48
	v_add_f16_e32 v9, v9, v12
	s_barrier
	ds_write_b32 v1, v2
	v_pack_b32_f16 v2, v21, v34
	v_pack_b32_f16 v12, v20, v30
	v_add_f16_e32 v47, v47, v49
	v_add_f16_e32 v44, v44, v46
	;; [unrolled: 1-line block ×3, first 2 shown]
	v_fma_f16 v39, v16, s2, v17
	ds_write2_b32 v1, v12, v2 offset0:1 offset1:2
	v_pack_b32_f16 v2, v25, v42
	v_pack_b32_f16 v12, v24, v38
	v_add_f16_e32 v45, v45, v47
	v_add_f16_e32 v37, v37, v40
	;; [unrolled: 1-line block ×3, first 2 shown]
	ds_write2_b32 v1, v12, v2 offset0:3 offset1:4
	v_pack_b32_f16 v2, v31, v44
	v_pack_b32_f16 v12, v27, v43
	ds_write2_b32 v1, v12, v2 offset0:5 offset1:6
	v_pack_b32_f16 v2, v37, v39
	v_pack_b32_f16 v12, v35, v45
	;; [unrolled: 3-line block ×6, first 2 shown]
	ds_write2_b32 v1, v8, v2 offset0:15 offset1:16
	v_mul_u32_u24_e32 v1, 0x223, v0
	v_lshrrev_b32_e32 v10, 16, v1
	v_mul_lo_u16_e32 v1, 0x78, v10
	v_sub_u16_e32 v11, v0, v1
	v_mad_u64_u32 v[0:1], s[2:3], s4, v11, 0
	v_mov_b32_e32 v2, v1
	v_mad_u64_u32 v[8:9], s[2:3], s5, v11, v[2:3]
	v_mov_b32_e32 v1, v8
	v_mul_lo_u16_e32 v8, 17, v11
	v_lshlrev_b32_e32 v8, 2, v8
	v_lshlrev_b32_e32 v9, 2, v10
	v_mul_lo_u32 v2, s6, v10
	v_add3_u32 v10, 0, v8, v9
	s_waitcnt lgkmcnt(0)
	s_barrier
	ds_read2_b32 v[6:7], v10 offset1:1
	v_lshl_add_u64 v[0:1], v[0:1], 2, v[4:5]
	v_add3_u32 v14, 0, v9, v8
	v_lshl_add_u64 v[4:5], v[2:3], 2, v[0:1]
	ds_read2_b32 v[8:9], v14 offset0:2 offset1:3
	ds_read2_b32 v[10:11], v14 offset0:4 offset1:5
	;; [unrolled: 1-line block ×3, first 2 shown]
	v_add_u32_e32 v2, s6, v2
	s_waitcnt lgkmcnt(3)
	global_store_dword v[4:5], v6, off
	v_lshl_add_u64 v[4:5], v[2:3], 2, v[0:1]
	v_add_u32_e32 v2, s6, v2
	global_store_dword v[4:5], v7, off
	v_lshl_add_u64 v[4:5], v[2:3], 2, v[0:1]
	v_add_u32_e32 v2, s6, v2
	s_waitcnt lgkmcnt(2)
	global_store_dword v[4:5], v8, off
	v_lshl_add_u64 v[4:5], v[2:3], 2, v[0:1]
	v_add_u32_e32 v2, s6, v2
	global_store_dword v[4:5], v9, off
	v_lshl_add_u64 v[4:5], v[2:3], 2, v[0:1]
	;; [unrolled: 7-line block ×3, first 2 shown]
	v_add_u32_e32 v2, s6, v2
	s_waitcnt lgkmcnt(0)
	global_store_dword v[4:5], v12, off
	v_lshl_add_u64 v[4:5], v[2:3], 2, v[0:1]
	global_store_dword v[4:5], v13, off
	ds_read2_b32 v[4:5], v14 offset0:8 offset1:9
	v_add_u32_e32 v2, s6, v2
	v_lshl_add_u64 v[6:7], v[2:3], 2, v[0:1]
	ds_read2_b32 v[8:9], v14 offset0:10 offset1:11
	ds_read2_b32 v[10:11], v14 offset0:12 offset1:13
	;; [unrolled: 1-line block ×3, first 2 shown]
	v_add_u32_e32 v2, s6, v2
	s_waitcnt lgkmcnt(3)
	global_store_dword v[6:7], v4, off
	v_lshl_add_u64 v[6:7], v[2:3], 2, v[0:1]
	v_add_u32_e32 v2, s6, v2
	global_store_dword v[6:7], v5, off
	v_lshl_add_u64 v[4:5], v[2:3], 2, v[0:1]
	v_add_u32_e32 v2, s6, v2
	s_waitcnt lgkmcnt(2)
	global_store_dword v[4:5], v8, off
	v_lshl_add_u64 v[4:5], v[2:3], 2, v[0:1]
	v_add_u32_e32 v2, s6, v2
	global_store_dword v[4:5], v9, off
	v_lshl_add_u64 v[4:5], v[2:3], 2, v[0:1]
	v_add_u32_e32 v2, s6, v2
	ds_read_b32 v6, v14 offset:64
	s_waitcnt lgkmcnt(2)
	global_store_dword v[4:5], v10, off
	v_lshl_add_u64 v[4:5], v[2:3], 2, v[0:1]
	v_add_u32_e32 v2, s6, v2
	global_store_dword v[4:5], v11, off
	v_lshl_add_u64 v[4:5], v[2:3], 2, v[0:1]
	v_add_u32_e32 v2, s6, v2
	s_waitcnt lgkmcnt(1)
	global_store_dword v[4:5], v12, off
	v_lshl_add_u64 v[4:5], v[2:3], 2, v[0:1]
	v_add_u32_e32 v2, s6, v2
	v_lshl_add_u64 v[0:1], v[2:3], 2, v[0:1]
	global_store_dword v[4:5], v13, off
	s_waitcnt lgkmcnt(0)
	global_store_dword v[0:1], v6, off
	s_endpgm
	.section	.rodata,"a",@progbits
	.p2align	6, 0x0
	.amdhsa_kernel fft_rtc_fwd_len17_factors_17_wgs_120_tpt_1_half_op_CI_CI_sbrc_xy_z_aligned
		.amdhsa_group_segment_fixed_size 0
		.amdhsa_private_segment_fixed_size 0
		.amdhsa_kernarg_size 104
		.amdhsa_user_sgpr_count 2
		.amdhsa_user_sgpr_dispatch_ptr 0
		.amdhsa_user_sgpr_queue_ptr 0
		.amdhsa_user_sgpr_kernarg_segment_ptr 1
		.amdhsa_user_sgpr_dispatch_id 0
		.amdhsa_user_sgpr_kernarg_preload_length 0
		.amdhsa_user_sgpr_kernarg_preload_offset 0
		.amdhsa_user_sgpr_private_segment_size 0
		.amdhsa_uses_dynamic_stack 0
		.amdhsa_enable_private_segment 0
		.amdhsa_system_sgpr_workgroup_id_x 1
		.amdhsa_system_sgpr_workgroup_id_y 0
		.amdhsa_system_sgpr_workgroup_id_z 0
		.amdhsa_system_sgpr_workgroup_info 0
		.amdhsa_system_vgpr_workitem_id 0
		.amdhsa_next_free_vgpr 59
		.amdhsa_next_free_sgpr 26
		.amdhsa_accum_offset 60
		.amdhsa_reserve_vcc 1
		.amdhsa_float_round_mode_32 0
		.amdhsa_float_round_mode_16_64 0
		.amdhsa_float_denorm_mode_32 3
		.amdhsa_float_denorm_mode_16_64 3
		.amdhsa_dx10_clamp 1
		.amdhsa_ieee_mode 1
		.amdhsa_fp16_overflow 0
		.amdhsa_tg_split 0
		.amdhsa_exception_fp_ieee_invalid_op 0
		.amdhsa_exception_fp_denorm_src 0
		.amdhsa_exception_fp_ieee_div_zero 0
		.amdhsa_exception_fp_ieee_overflow 0
		.amdhsa_exception_fp_ieee_underflow 0
		.amdhsa_exception_fp_ieee_inexact 0
		.amdhsa_exception_int_div_zero 0
	.end_amdhsa_kernel
	.text
.Lfunc_end0:
	.size	fft_rtc_fwd_len17_factors_17_wgs_120_tpt_1_half_op_CI_CI_sbrc_xy_z_aligned, .Lfunc_end0-fft_rtc_fwd_len17_factors_17_wgs_120_tpt_1_half_op_CI_CI_sbrc_xy_z_aligned
                                        ; -- End function
	.section	.AMDGPU.csdata,"",@progbits
; Kernel info:
; codeLenInByte = 7780
; NumSgprs: 32
; NumVgprs: 59
; NumAgprs: 0
; TotalNumVgprs: 59
; ScratchSize: 0
; MemoryBound: 0
; FloatMode: 240
; IeeeMode: 1
; LDSByteSize: 0 bytes/workgroup (compile time only)
; SGPRBlocks: 3
; VGPRBlocks: 7
; NumSGPRsForWavesPerEU: 32
; NumVGPRsForWavesPerEU: 59
; AccumOffset: 60
; Occupancy: 8
; WaveLimiterHint : 1
; COMPUTE_PGM_RSRC2:SCRATCH_EN: 0
; COMPUTE_PGM_RSRC2:USER_SGPR: 2
; COMPUTE_PGM_RSRC2:TRAP_HANDLER: 0
; COMPUTE_PGM_RSRC2:TGID_X_EN: 1
; COMPUTE_PGM_RSRC2:TGID_Y_EN: 0
; COMPUTE_PGM_RSRC2:TGID_Z_EN: 0
; COMPUTE_PGM_RSRC2:TIDIG_COMP_CNT: 0
; COMPUTE_PGM_RSRC3_GFX90A:ACCUM_OFFSET: 14
; COMPUTE_PGM_RSRC3_GFX90A:TG_SPLIT: 0
	.text
	.p2alignl 6, 3212836864
	.fill 256, 4, 3212836864
	.type	__hip_cuid_709c1f0b8cd83098,@object ; @__hip_cuid_709c1f0b8cd83098
	.section	.bss,"aw",@nobits
	.globl	__hip_cuid_709c1f0b8cd83098
__hip_cuid_709c1f0b8cd83098:
	.byte	0                               ; 0x0
	.size	__hip_cuid_709c1f0b8cd83098, 1

	.ident	"AMD clang version 19.0.0git (https://github.com/RadeonOpenCompute/llvm-project roc-6.4.0 25133 c7fe45cf4b819c5991fe208aaa96edf142730f1d)"
	.section	".note.GNU-stack","",@progbits
	.addrsig
	.addrsig_sym __hip_cuid_709c1f0b8cd83098
	.amdgpu_metadata
---
amdhsa.kernels:
  - .agpr_count:     0
    .args:
      - .actual_access:  read_only
        .address_space:  global
        .offset:         0
        .size:           8
        .value_kind:     global_buffer
      - .offset:         8
        .size:           8
        .value_kind:     by_value
      - .actual_access:  read_only
        .address_space:  global
        .offset:         16
        .size:           8
        .value_kind:     global_buffer
      - .actual_access:  read_only
        .address_space:  global
        .offset:         24
        .size:           8
        .value_kind:     global_buffer
      - .actual_access:  read_only
        .address_space:  global
        .offset:         32
        .size:           8
        .value_kind:     global_buffer
      - .offset:         40
        .size:           8
        .value_kind:     by_value
      - .actual_access:  read_only
        .address_space:  global
        .offset:         48
        .size:           8
        .value_kind:     global_buffer
      - .actual_access:  read_only
        .address_space:  global
        .offset:         56
        .size:           8
        .value_kind:     global_buffer
      - .offset:         64
        .size:           4
        .value_kind:     by_value
      - .actual_access:  read_only
        .address_space:  global
        .offset:         72
        .size:           8
        .value_kind:     global_buffer
      - .actual_access:  read_only
        .address_space:  global
        .offset:         80
        .size:           8
        .value_kind:     global_buffer
      - .actual_access:  read_only
        .address_space:  global
        .offset:         88
        .size:           8
        .value_kind:     global_buffer
      - .actual_access:  write_only
        .address_space:  global
        .offset:         96
        .size:           8
        .value_kind:     global_buffer
    .group_segment_fixed_size: 0
    .kernarg_segment_align: 8
    .kernarg_segment_size: 104
    .language:       OpenCL C
    .language_version:
      - 2
      - 0
    .max_flat_workgroup_size: 120
    .name:           fft_rtc_fwd_len17_factors_17_wgs_120_tpt_1_half_op_CI_CI_sbrc_xy_z_aligned
    .private_segment_fixed_size: 0
    .sgpr_count:     32
    .sgpr_spill_count: 0
    .symbol:         fft_rtc_fwd_len17_factors_17_wgs_120_tpt_1_half_op_CI_CI_sbrc_xy_z_aligned.kd
    .uniform_work_group_size: 1
    .uses_dynamic_stack: false
    .vgpr_count:     59
    .vgpr_spill_count: 0
    .wavefront_size: 64
amdhsa.target:   amdgcn-amd-amdhsa--gfx950
amdhsa.version:
  - 1
  - 2
...

	.end_amdgpu_metadata
